;; amdgpu-corpus repo=ggml-org/llama.cpp kind=compiled arch=gfx1250 opt=O3
	.amdgcn_target "amdgcn-amd-amdhsa--gfx1250"
	.amdhsa_code_object_version 6
	.section	.text._Z9fwht_cudaILi64EEvPKfPflf,"axG",@progbits,_Z9fwht_cudaILi64EEvPKfPflf,comdat
	.protected	_Z9fwht_cudaILi64EEvPKfPflf ; -- Begin function _Z9fwht_cudaILi64EEvPKfPflf
	.globl	_Z9fwht_cudaILi64EEvPKfPflf
	.p2align	8
	.type	_Z9fwht_cudaILi64EEvPKfPflf,@function
_Z9fwht_cudaILi64EEvPKfPflf:            ; @_Z9fwht_cudaILi64EEvPKfPflf
; %bb.0:
	s_clause 0x1
	s_load_u16 s4, s[0:1], 0x2e
	s_load_b64 s[2:3], s[0:1], 0x10
	s_bfe_u32 s5, ttmp6, 0x4000c
	s_and_b32 s6, ttmp6, 15
	s_add_co_i32 s5, s5, 1
	s_getreg_b32 s7, hwreg(HW_REG_IB_STS2, 6, 4)
	s_mul_i32 s5, ttmp9, s5
	v_bfe_u32 v2, v0, 10, 10
	v_mov_b32_e32 v3, 0
	s_add_co_i32 s6, s6, s5
	s_cmp_eq_u32 s7, 0
	s_cselect_b32 s5, ttmp9, s6
	s_wait_kmcnt 0x0
	v_mad_nc_u64_u32 v[4:5], s4, s5, v[2:3]
	s_delay_alu instid0(VALU_DEP_1)
	v_cmp_gt_i64_e32 vcc_lo, s[2:3], v[4:5]
	s_and_saveexec_b32 s2, vcc_lo
	s_cbranch_execz .LBB0_2
; %bb.1:
	s_load_b128 s[4:7], s[0:1], 0x0
	v_lshlrev_b64_e32 v[4:5], 8, v[4:5]
	v_and_b32_e32 v1, 0x3ff, v0
	s_wait_xcnt 0x0
	s_load_b32 s0, s[0:1], 0x18
	s_delay_alu instid0(VALU_DEP_1) | instskip(SKIP_1) | instid1(VALU_DEP_3)
	v_lshlrev_b32_e32 v2, 2, v1
	s_wait_kmcnt 0x0
	v_add_nc_u64_e32 v[6:7], s[4:5], v[4:5]
	s_delay_alu instid0(VALU_DEP_1)
	v_add_nc_u64_e32 v[6:7], v[6:7], v[2:3]
	s_clause 0x1
	global_load_b32 v1, v[6:7], off
	global_load_b32 v8, v[6:7], off offset:128
	s_wait_xcnt 0x0
	v_mbcnt_lo_u32_b32 v6, -1, 0
	s_delay_alu instid0(VALU_DEP_1) | instskip(NEXT) | instid1(VALU_DEP_1)
	v_xor_b32_e32 v7, 1, v6
	v_cmp_gt_i32_e32 vcc_lo, 32, v7
	s_wait_loadcnt 0x1
	v_dual_cndmask_b32 v7, v6, v7, vcc_lo :: v_dual_mul_f32 v1, s0, v1
	s_wait_loadcnt 0x0
	s_delay_alu instid0(VALU_DEP_1)
	v_dual_mul_f32 v8, s0, v8 :: v_dual_lshlrev_b32 v7, 2, v7
	v_and_b32_e32 v10, 1, v0
	ds_bpermute_b32 v9, v7, v1
	ds_bpermute_b32 v7, v7, v8
	v_cmp_eq_u32_e32 vcc_lo, 0, v10
	v_dual_cndmask_b32 v8, -v8, v8, vcc_lo :: v_dual_bitop2_b32 v11, 2, v6 bitop3:0x14
	s_delay_alu instid0(VALU_DEP_1) | instskip(NEXT) | instid1(VALU_DEP_1)
	v_cmp_gt_i32_e64 s0, 32, v11
	v_dual_cndmask_b32 v1, -v1, v1, vcc_lo :: v_dual_cndmask_b32 v10, v6, v11, s0
	s_wait_dscnt 0x1
	s_delay_alu instid0(VALU_DEP_1)
	v_dual_add_f32 v1, v1, v9 :: v_dual_lshlrev_b32 v10, 2, v10
	s_wait_dscnt 0x0
	v_add_f32_e32 v7, v8, v7
	ds_bpermute_b32 v8, v10, v1
	ds_bpermute_b32 v9, v10, v7
	v_and_b32_e32 v10, 2, v0
	s_delay_alu instid0(VALU_DEP_1) | instskip(SKIP_1) | instid1(VALU_DEP_1)
	v_cmp_eq_u32_e32 vcc_lo, 0, v10
	v_dual_cndmask_b32 v7, -v7, v7, vcc_lo :: v_dual_bitop2_b32 v11, 4, v6 bitop3:0x14
	v_cmp_gt_i32_e64 s0, 32, v11
	s_delay_alu instid0(VALU_DEP_1) | instskip(SKIP_1) | instid1(VALU_DEP_1)
	v_dual_cndmask_b32 v1, -v1, v1, vcc_lo :: v_dual_cndmask_b32 v10, v6, v11, s0
	s_wait_dscnt 0x0
	v_dual_add_f32 v1, v1, v8 :: v_dual_add_f32 v7, v7, v9
	s_delay_alu instid0(VALU_DEP_2) | instskip(SKIP_3) | instid1(VALU_DEP_1)
	v_lshlrev_b32_e32 v10, 2, v10
	ds_bpermute_b32 v8, v10, v1
	ds_bpermute_b32 v9, v10, v7
	v_and_b32_e32 v10, 4, v0
	v_cmp_eq_u32_e32 vcc_lo, 0, v10
	v_dual_cndmask_b32 v7, -v7, v7, vcc_lo :: v_dual_bitop2_b32 v11, 8, v6 bitop3:0x14
	s_delay_alu instid0(VALU_DEP_1) | instskip(NEXT) | instid1(VALU_DEP_1)
	v_cmp_gt_i32_e64 s0, 32, v11
	v_dual_cndmask_b32 v1, -v1, v1, vcc_lo :: v_dual_cndmask_b32 v10, v6, v11, s0
	s_wait_dscnt 0x0
	s_delay_alu instid0(VALU_DEP_1) | instskip(SKIP_1) | instid1(VALU_DEP_3)
	v_dual_add_f32 v1, v1, v8 :: v_dual_add_f32 v7, v7, v9
	v_xor_b32_e32 v11, 16, v6
	v_lshlrev_b32_e32 v10, 2, v10
	s_delay_alu instid0(VALU_DEP_2) | instskip(SKIP_3) | instid1(VALU_DEP_1)
	v_cmp_gt_i32_e64 s0, 32, v11
	ds_bpermute_b32 v8, v10, v1
	ds_bpermute_b32 v9, v10, v7
	v_dual_cndmask_b32 v6, v6, v11, s0 :: v_dual_bitop2_b32 v10, 8, v0 bitop3:0x40
	v_cmp_eq_u32_e32 vcc_lo, 0, v10
	s_delay_alu instid0(VALU_DEP_2) | instskip(SKIP_2) | instid1(VALU_DEP_1)
	v_dual_lshlrev_b32 v6, 2, v6 :: v_dual_cndmask_b32 v7, -v7, v7, vcc_lo
	v_cndmask_b32_e64 v1, -v1, v1, vcc_lo
	s_wait_dscnt 0x0
	v_dual_add_f32 v1, v1, v8 :: v_dual_add_f32 v7, v7, v9
	v_and_b32_e32 v0, 16, v0
	ds_bpermute_b32 v8, v6, v1
	ds_bpermute_b32 v6, v6, v7
	v_cmp_eq_u32_e32 vcc_lo, 0, v0
	v_dual_cndmask_b32 v9, -v1, v1, vcc_lo :: v_dual_cndmask_b32 v7, -v7, v7, vcc_lo
	v_add_nc_u64_e32 v[0:1], s[6:7], v[4:5]
	s_delay_alu instid0(VALU_DEP_1) | instskip(SKIP_1) | instid1(VALU_DEP_3)
	v_add_nc_u64_e32 v[0:1], v[0:1], v[2:3]
	s_wait_dscnt 0x0
	v_dual_add_f32 v4, v9, v8 :: v_dual_add_f32 v5, v7, v6
	s_delay_alu instid0(VALU_DEP_1)
	v_dual_add_f32 v2, v4, v5 :: v_dual_sub_f32 v3, v4, v5
	s_clause 0x1
	global_store_b32 v[0:1], v2, off
	global_store_b32 v[0:1], v3, off offset:128
.LBB0_2:
	s_endpgm
	.section	.rodata,"a",@progbits
	.p2align	6, 0x0
	.amdhsa_kernel _Z9fwht_cudaILi64EEvPKfPflf
		.amdhsa_group_segment_fixed_size 0
		.amdhsa_private_segment_fixed_size 0
		.amdhsa_kernarg_size 288
		.amdhsa_user_sgpr_count 2
		.amdhsa_user_sgpr_dispatch_ptr 0
		.amdhsa_user_sgpr_queue_ptr 0
		.amdhsa_user_sgpr_kernarg_segment_ptr 1
		.amdhsa_user_sgpr_dispatch_id 0
		.amdhsa_user_sgpr_kernarg_preload_length 0
		.amdhsa_user_sgpr_kernarg_preload_offset 0
		.amdhsa_user_sgpr_private_segment_size 0
		.amdhsa_wavefront_size32 1
		.amdhsa_uses_dynamic_stack 0
		.amdhsa_enable_private_segment 0
		.amdhsa_system_sgpr_workgroup_id_x 1
		.amdhsa_system_sgpr_workgroup_id_y 0
		.amdhsa_system_sgpr_workgroup_id_z 0
		.amdhsa_system_sgpr_workgroup_info 0
		.amdhsa_system_vgpr_workitem_id 1
		.amdhsa_next_free_vgpr 12
		.amdhsa_next_free_sgpr 8
		.amdhsa_named_barrier_count 0
		.amdhsa_reserve_vcc 1
		.amdhsa_float_round_mode_32 0
		.amdhsa_float_round_mode_16_64 0
		.amdhsa_float_denorm_mode_32 3
		.amdhsa_float_denorm_mode_16_64 3
		.amdhsa_fp16_overflow 0
		.amdhsa_memory_ordered 1
		.amdhsa_forward_progress 1
		.amdhsa_inst_pref_size 6
		.amdhsa_round_robin_scheduling 0
		.amdhsa_exception_fp_ieee_invalid_op 0
		.amdhsa_exception_fp_denorm_src 0
		.amdhsa_exception_fp_ieee_div_zero 0
		.amdhsa_exception_fp_ieee_overflow 0
		.amdhsa_exception_fp_ieee_underflow 0
		.amdhsa_exception_fp_ieee_inexact 0
		.amdhsa_exception_int_div_zero 0
	.end_amdhsa_kernel
	.section	.text._Z9fwht_cudaILi64EEvPKfPflf,"axG",@progbits,_Z9fwht_cudaILi64EEvPKfPflf,comdat
.Lfunc_end0:
	.size	_Z9fwht_cudaILi64EEvPKfPflf, .Lfunc_end0-_Z9fwht_cudaILi64EEvPKfPflf
                                        ; -- End function
	.set _Z9fwht_cudaILi64EEvPKfPflf.num_vgpr, 12
	.set _Z9fwht_cudaILi64EEvPKfPflf.num_agpr, 0
	.set _Z9fwht_cudaILi64EEvPKfPflf.numbered_sgpr, 8
	.set _Z9fwht_cudaILi64EEvPKfPflf.num_named_barrier, 0
	.set _Z9fwht_cudaILi64EEvPKfPflf.private_seg_size, 0
	.set _Z9fwht_cudaILi64EEvPKfPflf.uses_vcc, 1
	.set _Z9fwht_cudaILi64EEvPKfPflf.uses_flat_scratch, 0
	.set _Z9fwht_cudaILi64EEvPKfPflf.has_dyn_sized_stack, 0
	.set _Z9fwht_cudaILi64EEvPKfPflf.has_recursion, 0
	.set _Z9fwht_cudaILi64EEvPKfPflf.has_indirect_call, 0
	.section	.AMDGPU.csdata,"",@progbits
; Kernel info:
; codeLenInByte = 684
; TotalNumSgprs: 10
; NumVgprs: 12
; ScratchSize: 0
; MemoryBound: 0
; FloatMode: 240
; IeeeMode: 1
; LDSByteSize: 0 bytes/workgroup (compile time only)
; SGPRBlocks: 0
; VGPRBlocks: 0
; NumSGPRsForWavesPerEU: 10
; NumVGPRsForWavesPerEU: 12
; NamedBarCnt: 0
; Occupancy: 16
; WaveLimiterHint : 1
; COMPUTE_PGM_RSRC2:SCRATCH_EN: 0
; COMPUTE_PGM_RSRC2:USER_SGPR: 2
; COMPUTE_PGM_RSRC2:TRAP_HANDLER: 0
; COMPUTE_PGM_RSRC2:TGID_X_EN: 1
; COMPUTE_PGM_RSRC2:TGID_Y_EN: 0
; COMPUTE_PGM_RSRC2:TGID_Z_EN: 0
; COMPUTE_PGM_RSRC2:TIDIG_COMP_CNT: 1
	.section	.text._Z9fwht_cudaILi128EEvPKfPflf,"axG",@progbits,_Z9fwht_cudaILi128EEvPKfPflf,comdat
	.protected	_Z9fwht_cudaILi128EEvPKfPflf ; -- Begin function _Z9fwht_cudaILi128EEvPKfPflf
	.globl	_Z9fwht_cudaILi128EEvPKfPflf
	.p2align	8
	.type	_Z9fwht_cudaILi128EEvPKfPflf,@function
_Z9fwht_cudaILi128EEvPKfPflf:           ; @_Z9fwht_cudaILi128EEvPKfPflf
; %bb.0:
	s_clause 0x1
	s_load_u16 s4, s[0:1], 0x2e
	s_load_b64 s[2:3], s[0:1], 0x10
	s_bfe_u32 s5, ttmp6, 0x4000c
	s_and_b32 s6, ttmp6, 15
	s_add_co_i32 s5, s5, 1
	s_getreg_b32 s7, hwreg(HW_REG_IB_STS2, 6, 4)
	s_mul_i32 s5, ttmp9, s5
	v_bfe_u32 v2, v0, 10, 10
	v_mov_b32_e32 v3, 0
	s_add_co_i32 s6, s6, s5
	s_cmp_eq_u32 s7, 0
	s_cselect_b32 s5, ttmp9, s6
	s_wait_kmcnt 0x0
	v_mad_nc_u64_u32 v[4:5], s4, s5, v[2:3]
	s_delay_alu instid0(VALU_DEP_1)
	v_cmp_gt_i64_e32 vcc_lo, s[2:3], v[4:5]
	s_and_saveexec_b32 s2, vcc_lo
	s_cbranch_execz .LBB1_2
; %bb.1:
	s_load_b128 s[4:7], s[0:1], 0x0
	v_lshlrev_b64_e32 v[4:5], 9, v[4:5]
	v_and_b32_e32 v1, 0x3ff, v0
	s_wait_xcnt 0x0
	s_load_b32 s0, s[0:1], 0x18
	s_delay_alu instid0(VALU_DEP_1) | instskip(SKIP_1) | instid1(VALU_DEP_3)
	v_lshlrev_b32_e32 v2, 2, v1
	s_wait_kmcnt 0x0
	v_add_nc_u64_e32 v[6:7], s[4:5], v[4:5]
	s_delay_alu instid0(VALU_DEP_1)
	v_add_nc_u64_e32 v[6:7], v[6:7], v[2:3]
	s_clause 0x3
	global_load_b32 v1, v[6:7], off
	global_load_b32 v8, v[6:7], off offset:128
	global_load_b32 v9, v[6:7], off offset:256
	;; [unrolled: 1-line block ×3, first 2 shown]
	s_wait_xcnt 0x0
	v_mbcnt_lo_u32_b32 v6, -1, 0
	s_delay_alu instid0(VALU_DEP_1) | instskip(NEXT) | instid1(VALU_DEP_1)
	v_xor_b32_e32 v7, 1, v6
	v_cmp_gt_i32_e32 vcc_lo, 32, v7
	s_wait_loadcnt 0x3
	v_dual_cndmask_b32 v7, v6, v7, vcc_lo :: v_dual_mul_f32 v1, s0, v1
	s_wait_loadcnt 0x2
	s_delay_alu instid0(VALU_DEP_1)
	v_dual_mul_f32 v8, s0, v8 :: v_dual_lshlrev_b32 v7, 2, v7
	s_wait_loadcnt 0x0
	v_dual_mul_f32 v9, s0, v9 :: v_dual_mul_f32 v10, s0, v10
	v_and_b32_e32 v14, 1, v0
	ds_bpermute_b32 v11, v7, v1
	ds_bpermute_b32 v12, v7, v8
	;; [unrolled: 1-line block ×4, first 2 shown]
	v_cmp_eq_u32_e32 vcc_lo, 0, v14
	v_dual_cndmask_b32 v8, -v8, v8, vcc_lo :: v_dual_bitop2_b32 v15, 2, v6 bitop3:0x14
	s_delay_alu instid0(VALU_DEP_1) | instskip(SKIP_2) | instid1(VALU_DEP_3)
	v_cmp_gt_i32_e64 s0, 32, v15
	v_cndmask_b32_e64 v1, -v1, v1, vcc_lo
	v_dual_cndmask_b32 v9, -v9, v9, vcc_lo :: v_dual_cndmask_b32 v10, -v10, v10, vcc_lo
	v_cndmask_b32_e64 v14, v6, v15, s0
	s_wait_dscnt 0x2
	s_delay_alu instid0(VALU_DEP_1)
	v_dual_lshlrev_b32 v14, 2, v14 :: v_dual_add_f32 v8, v8, v12
	v_add_f32_e32 v1, v1, v11
	s_wait_dscnt 0x0
	v_dual_add_f32 v9, v9, v13 :: v_dual_add_f32 v7, v10, v7
	ds_bpermute_b32 v11, v14, v8
	ds_bpermute_b32 v10, v14, v1
	;; [unrolled: 1-line block ×4, first 2 shown]
	v_and_b32_e32 v14, 2, v0
	s_delay_alu instid0(VALU_DEP_1) | instskip(SKIP_1) | instid1(VALU_DEP_1)
	v_cmp_eq_u32_e32 vcc_lo, 0, v14
	v_dual_cndmask_b32 v8, -v8, v8, vcc_lo :: v_dual_bitop2_b32 v15, 4, v6 bitop3:0x14
	v_cmp_gt_i32_e64 s0, 32, v15
	v_cndmask_b32_e64 v1, -v1, v1, vcc_lo
	s_delay_alu instid0(VALU_DEP_2) | instskip(SKIP_1) | instid1(VALU_DEP_2)
	v_dual_cndmask_b32 v9, -v9, v9, vcc_lo :: v_dual_cndmask_b32 v14, v6, v15, s0
	s_wait_dscnt 0x2
	v_dual_cndmask_b32 v7, -v7, v7, vcc_lo :: v_dual_add_f32 v1, v1, v10
	s_delay_alu instid0(VALU_DEP_2) | instskip(SKIP_1) | instid1(VALU_DEP_2)
	v_dual_add_f32 v8, v8, v11 :: v_dual_lshlrev_b32 v14, 2, v14
	s_wait_dscnt 0x0
	v_dual_add_f32 v9, v9, v12 :: v_dual_add_f32 v7, v7, v13
	ds_bpermute_b32 v10, v14, v1
	ds_bpermute_b32 v11, v14, v8
	ds_bpermute_b32 v12, v14, v9
	ds_bpermute_b32 v13, v14, v7
	v_and_b32_e32 v14, 4, v0
	s_delay_alu instid0(VALU_DEP_1) | instskip(SKIP_1) | instid1(VALU_DEP_1)
	v_cmp_eq_u32_e32 vcc_lo, 0, v14
	v_dual_cndmask_b32 v8, -v8, v8, vcc_lo :: v_dual_bitop2_b32 v15, 8, v6 bitop3:0x14
	v_cmp_gt_i32_e64 s0, 32, v15
	v_cndmask_b32_e64 v1, -v1, v1, vcc_lo
	s_delay_alu instid0(VALU_DEP_2) | instskip(SKIP_1) | instid1(VALU_DEP_2)
	v_dual_cndmask_b32 v9, -v9, v9, vcc_lo :: v_dual_cndmask_b32 v14, v6, v15, s0
	s_wait_dscnt 0x3
	v_dual_cndmask_b32 v7, -v7, v7, vcc_lo :: v_dual_add_f32 v1, v1, v10
	s_wait_dscnt 0x2
	v_dual_add_f32 v8, v8, v11 :: v_dual_bitop2_b32 v15, 16, v6 bitop3:0x14
	s_wait_dscnt 0x1
	v_dual_add_f32 v9, v9, v12 :: v_dual_lshlrev_b32 v14, 2, v14
	s_wait_dscnt 0x0
	v_add_f32_e32 v7, v7, v13
	v_cmp_gt_i32_e64 s0, 32, v15
	ds_bpermute_b32 v10, v14, v1
	ds_bpermute_b32 v11, v14, v8
	;; [unrolled: 1-line block ×4, first 2 shown]
	v_dual_cndmask_b32 v6, v6, v15, s0 :: v_dual_bitop2_b32 v14, 8, v0 bitop3:0x40
	s_delay_alu instid0(VALU_DEP_1) | instskip(NEXT) | instid1(VALU_DEP_2)
	v_cmp_eq_u32_e32 vcc_lo, 0, v14
	v_dual_lshlrev_b32 v6, 2, v6 :: v_dual_cndmask_b32 v7, -v7, v7, vcc_lo
	v_dual_cndmask_b32 v1, -v1, v1, vcc_lo :: v_dual_cndmask_b32 v8, -v8, v8, vcc_lo
	v_cndmask_b32_e64 v9, -v9, v9, vcc_lo
	s_wait_dscnt 0x2
	s_delay_alu instid0(VALU_DEP_2) | instskip(SKIP_1) | instid1(VALU_DEP_2)
	v_dual_add_f32 v1, v1, v10 :: v_dual_add_f32 v8, v8, v11
	s_wait_dscnt 0x0
	v_dual_add_f32 v9, v9, v12 :: v_dual_add_f32 v7, v7, v13
	v_and_b32_e32 v0, 16, v0
	ds_bpermute_b32 v10, v6, v1
	ds_bpermute_b32 v11, v6, v8
	;; [unrolled: 1-line block ×4, first 2 shown]
	v_cmp_eq_u32_e32 vcc_lo, 0, v0
	v_dual_cndmask_b32 v0, -v1, v1, vcc_lo :: v_dual_cndmask_b32 v1, -v8, v8, vcc_lo
	v_dual_cndmask_b32 v8, -v9, v9, vcc_lo :: v_dual_cndmask_b32 v7, -v7, v7, vcc_lo
	s_wait_dscnt 0x2
	s_delay_alu instid0(VALU_DEP_2) | instskip(SKIP_1) | instid1(VALU_DEP_2)
	v_dual_add_f32 v9, v0, v10 :: v_dual_add_f32 v10, v1, v11
	s_wait_dscnt 0x1
	v_add_f32_e32 v8, v8, v12
	v_add_nc_u64_e32 v[0:1], s[6:7], v[4:5]
	s_delay_alu instid0(VALU_DEP_3) | instskip(SKIP_2) | instid1(VALU_DEP_3)
	v_dual_add_f32 v4, v9, v10 :: v_dual_sub_f32 v5, v9, v10
	s_wait_dscnt 0x0
	v_add_f32_e32 v6, v7, v6
	v_add_nc_u64_e32 v[0:1], v[0:1], v[2:3]
	s_delay_alu instid0(VALU_DEP_2) | instskip(NEXT) | instid1(VALU_DEP_1)
	v_add_f32_e32 v7, v8, v6
	v_add_f32_e32 v2, v4, v7
	v_sub_f32_e32 v6, v8, v6
	s_delay_alu instid0(VALU_DEP_1)
	v_dual_sub_f32 v4, v4, v7 :: v_dual_add_f32 v3, v5, v6
	v_sub_f32_e32 v5, v5, v6
	s_clause 0x3
	global_store_b32 v[0:1], v2, off
	global_store_b32 v[0:1], v3, off offset:128
	global_store_b32 v[0:1], v4, off offset:256
	;; [unrolled: 1-line block ×3, first 2 shown]
.LBB1_2:
	s_endpgm
	.section	.rodata,"a",@progbits
	.p2align	6, 0x0
	.amdhsa_kernel _Z9fwht_cudaILi128EEvPKfPflf
		.amdhsa_group_segment_fixed_size 0
		.amdhsa_private_segment_fixed_size 0
		.amdhsa_kernarg_size 288
		.amdhsa_user_sgpr_count 2
		.amdhsa_user_sgpr_dispatch_ptr 0
		.amdhsa_user_sgpr_queue_ptr 0
		.amdhsa_user_sgpr_kernarg_segment_ptr 1
		.amdhsa_user_sgpr_dispatch_id 0
		.amdhsa_user_sgpr_kernarg_preload_length 0
		.amdhsa_user_sgpr_kernarg_preload_offset 0
		.amdhsa_user_sgpr_private_segment_size 0
		.amdhsa_wavefront_size32 1
		.amdhsa_uses_dynamic_stack 0
		.amdhsa_enable_private_segment 0
		.amdhsa_system_sgpr_workgroup_id_x 1
		.amdhsa_system_sgpr_workgroup_id_y 0
		.amdhsa_system_sgpr_workgroup_id_z 0
		.amdhsa_system_sgpr_workgroup_info 0
		.amdhsa_system_vgpr_workitem_id 1
		.amdhsa_next_free_vgpr 16
		.amdhsa_next_free_sgpr 8
		.amdhsa_named_barrier_count 0
		.amdhsa_reserve_vcc 1
		.amdhsa_float_round_mode_32 0
		.amdhsa_float_round_mode_16_64 0
		.amdhsa_float_denorm_mode_32 3
		.amdhsa_float_denorm_mode_16_64 3
		.amdhsa_fp16_overflow 0
		.amdhsa_memory_ordered 1
		.amdhsa_forward_progress 1
		.amdhsa_inst_pref_size 8
		.amdhsa_round_robin_scheduling 0
		.amdhsa_exception_fp_ieee_invalid_op 0
		.amdhsa_exception_fp_denorm_src 0
		.amdhsa_exception_fp_ieee_div_zero 0
		.amdhsa_exception_fp_ieee_overflow 0
		.amdhsa_exception_fp_ieee_underflow 0
		.amdhsa_exception_fp_ieee_inexact 0
		.amdhsa_exception_int_div_zero 0
	.end_amdhsa_kernel
	.section	.text._Z9fwht_cudaILi128EEvPKfPflf,"axG",@progbits,_Z9fwht_cudaILi128EEvPKfPflf,comdat
.Lfunc_end1:
	.size	_Z9fwht_cudaILi128EEvPKfPflf, .Lfunc_end1-_Z9fwht_cudaILi128EEvPKfPflf
                                        ; -- End function
	.set _Z9fwht_cudaILi128EEvPKfPflf.num_vgpr, 16
	.set _Z9fwht_cudaILi128EEvPKfPflf.num_agpr, 0
	.set _Z9fwht_cudaILi128EEvPKfPflf.numbered_sgpr, 8
	.set _Z9fwht_cudaILi128EEvPKfPflf.num_named_barrier, 0
	.set _Z9fwht_cudaILi128EEvPKfPflf.private_seg_size, 0
	.set _Z9fwht_cudaILi128EEvPKfPflf.uses_vcc, 1
	.set _Z9fwht_cudaILi128EEvPKfPflf.uses_flat_scratch, 0
	.set _Z9fwht_cudaILi128EEvPKfPflf.has_dyn_sized_stack, 0
	.set _Z9fwht_cudaILi128EEvPKfPflf.has_recursion, 0
	.set _Z9fwht_cudaILi128EEvPKfPflf.has_indirect_call, 0
	.section	.AMDGPU.csdata,"",@progbits
; Kernel info:
; codeLenInByte = 1008
; TotalNumSgprs: 10
; NumVgprs: 16
; ScratchSize: 0
; MemoryBound: 0
; FloatMode: 240
; IeeeMode: 1
; LDSByteSize: 0 bytes/workgroup (compile time only)
; SGPRBlocks: 0
; VGPRBlocks: 0
; NumSGPRsForWavesPerEU: 10
; NumVGPRsForWavesPerEU: 16
; NamedBarCnt: 0
; Occupancy: 16
; WaveLimiterHint : 1
; COMPUTE_PGM_RSRC2:SCRATCH_EN: 0
; COMPUTE_PGM_RSRC2:USER_SGPR: 2
; COMPUTE_PGM_RSRC2:TRAP_HANDLER: 0
; COMPUTE_PGM_RSRC2:TGID_X_EN: 1
; COMPUTE_PGM_RSRC2:TGID_Y_EN: 0
; COMPUTE_PGM_RSRC2:TGID_Z_EN: 0
; COMPUTE_PGM_RSRC2:TIDIG_COMP_CNT: 1
	.section	.text._Z9fwht_cudaILi256EEvPKfPflf,"axG",@progbits,_Z9fwht_cudaILi256EEvPKfPflf,comdat
	.protected	_Z9fwht_cudaILi256EEvPKfPflf ; -- Begin function _Z9fwht_cudaILi256EEvPKfPflf
	.globl	_Z9fwht_cudaILi256EEvPKfPflf
	.p2align	8
	.type	_Z9fwht_cudaILi256EEvPKfPflf,@function
_Z9fwht_cudaILi256EEvPKfPflf:           ; @_Z9fwht_cudaILi256EEvPKfPflf
; %bb.0:
	s_clause 0x1
	s_load_u16 s4, s[0:1], 0x2e
	s_load_b64 s[2:3], s[0:1], 0x10
	s_bfe_u32 s5, ttmp6, 0x4000c
	s_and_b32 s6, ttmp6, 15
	s_add_co_i32 s5, s5, 1
	s_getreg_b32 s7, hwreg(HW_REG_IB_STS2, 6, 4)
	s_mul_i32 s5, ttmp9, s5
	v_bfe_u32 v2, v0, 10, 10
	v_mov_b32_e32 v3, 0
	s_add_co_i32 s6, s6, s5
	s_cmp_eq_u32 s7, 0
	s_cselect_b32 s5, ttmp9, s6
	s_wait_kmcnt 0x0
	v_mad_nc_u64_u32 v[4:5], s4, s5, v[2:3]
	s_delay_alu instid0(VALU_DEP_1)
	v_cmp_gt_i64_e32 vcc_lo, s[2:3], v[4:5]
	s_and_saveexec_b32 s2, vcc_lo
	s_cbranch_execz .LBB2_2
; %bb.1:
	s_load_b128 s[4:7], s[0:1], 0x0
	v_lshlrev_b64_e32 v[4:5], 10, v[4:5]
	v_and_b32_e32 v1, 0x3ff, v0
	s_wait_xcnt 0x0
	s_load_b32 s0, s[0:1], 0x18
	s_delay_alu instid0(VALU_DEP_1) | instskip(SKIP_1) | instid1(VALU_DEP_3)
	v_lshlrev_b32_e32 v2, 2, v1
	s_wait_kmcnt 0x0
	v_add_nc_u64_e32 v[6:7], s[4:5], v[4:5]
	s_delay_alu instid0(VALU_DEP_1)
	v_add_nc_u64_e32 v[6:7], v[6:7], v[2:3]
	s_clause 0x7
	global_load_b32 v1, v[6:7], off
	global_load_b32 v8, v[6:7], off offset:128
	global_load_b32 v9, v[6:7], off offset:256
	;; [unrolled: 1-line block ×7, first 2 shown]
	s_wait_xcnt 0x0
	v_mbcnt_lo_u32_b32 v6, -1, 0
	v_and_b32_e32 v7, 1, v0
	v_and_b32_e32 v17, 4, v0
	;; [unrolled: 1-line block ×3, first 2 shown]
	s_delay_alu instid0(VALU_DEP_4) | instskip(SKIP_3) | instid1(VALU_DEP_3)
	v_xor_b32_e32 v16, 1, v6
	v_xor_b32_e32 v21, 8, v6
	s_wait_loadcnt 0x7
	v_dual_mul_f32 v1, s0, v1 :: v_dual_bitop2_b32 v22, 16, v6 bitop3:0x14
	v_cmp_gt_i32_e32 vcc_lo, 32, v16
	s_wait_loadcnt 0x6
	v_dual_mul_f32 v8, s0, v8 :: v_dual_bitop2_b32 v19, 2, v6 bitop3:0x14
	s_wait_loadcnt 0x4
	v_dual_mul_f32 v9, s0, v9 :: v_dual_mul_f32 v10, s0, v10
	v_dual_cndmask_b32 v16, v6, v16, vcc_lo :: v_dual_bitop2_b32 v20, 4, v6 bitop3:0x14
	s_delay_alu instid0(VALU_DEP_3)
	v_cmp_gt_i32_e32 vcc_lo, 32, v19
	s_wait_loadcnt 0x2
	v_dual_mul_f32 v11, s0, v11 :: v_dual_mul_f32 v12, s0, v12
	s_wait_loadcnt 0x1
	v_dual_mul_f32 v13, s0, v13 :: v_dual_lshlrev_b32 v16, 2, v16
	s_wait_loadcnt 0x0
	v_mul_f32_e32 v14, s0, v14
	v_cmp_gt_i32_e64 s0, 32, v20
	v_dual_cndmask_b32 v19, v6, v19, vcc_lo :: v_dual_bitop2_b32 v15, 2, v0 bitop3:0x40
	ds_bpermute_b32 v23, v16, v1
	ds_bpermute_b32 v24, v16, v8
	;; [unrolled: 1-line block ×7, first 2 shown]
	v_cmp_eq_u32_e32 vcc_lo, 0, v7
	v_cndmask_b32_e64 v7, v6, v20, s0
	ds_bpermute_b32 v16, v16, v14
	v_lshlrev_b32_e32 v19, 2, v19
	v_cmp_gt_i32_e64 s0, 32, v21
	v_dual_cndmask_b32 v1, -v1, v1, vcc_lo :: v_dual_cndmask_b32 v8, -v8, v8, vcc_lo
	v_dual_cndmask_b32 v9, -v9, v9, vcc_lo :: v_dual_cndmask_b32 v10, -v10, v10, vcc_lo
	;; [unrolled: 1-line block ×4, first 2 shown]
	s_wait_dscnt 0x6
	v_dual_add_f32 v1, v1, v23 :: v_dual_add_f32 v8, v8, v24
	s_wait_dscnt 0x4
	v_dual_add_f32 v9, v9, v25 :: v_dual_add_f32 v10, v10, v26
	;; [unrolled: 2-line block ×3, first 2 shown]
	s_wait_dscnt 0x1
	v_add_f32_e32 v13, v13, v29
	ds_bpermute_b32 v20, v19, v8
	ds_bpermute_b32 v23, v19, v9
	s_wait_dscnt 0x2
	v_dual_add_f32 v14, v14, v16 :: v_dual_lshlrev_b32 v7, 2, v7
	ds_bpermute_b32 v16, v19, v1
	ds_bpermute_b32 v24, v19, v10
	;; [unrolled: 1-line block ×6, first 2 shown]
	v_cmp_eq_u32_e32 vcc_lo, 0, v15
	v_cndmask_b32_e64 v15, v6, v21, s0
	v_cmp_gt_i32_e64 s0, 32, v22
	v_dual_cndmask_b32 v1, -v1, v1, vcc_lo :: v_dual_cndmask_b32 v10, -v10, v10, vcc_lo
	v_dual_cndmask_b32 v8, -v8, v8, vcc_lo :: v_dual_cndmask_b32 v9, -v9, v9, vcc_lo
	;; [unrolled: 1-line block ×4, first 2 shown]
	s_wait_dscnt 0x6
	s_delay_alu instid0(VALU_DEP_3)
	v_dual_add_f32 v8, v8, v20 :: v_dual_add_f32 v9, v9, v23
	s_wait_dscnt 0x5
	v_add_f32_e32 v1, v1, v16
	s_wait_dscnt 0x3
	v_dual_add_f32 v10, v10, v24 :: v_dual_add_f32 v11, v11, v25
	s_wait_dscnt 0x1
	v_dual_add_f32 v12, v12, v26 :: v_dual_add_f32 v13, v13, v27
	v_cmp_eq_u32_e32 vcc_lo, 0, v17
	s_wait_dscnt 0x0
	v_add_f32_e32 v14, v14, v19
	ds_bpermute_b32 v16, v7, v1
	ds_bpermute_b32 v19, v7, v8
	;; [unrolled: 1-line block ×7, first 2 shown]
	v_cndmask_b32_e64 v1, -v1, v1, vcc_lo
	ds_bpermute_b32 v7, v7, v14
	v_dual_cndmask_b32 v8, -v8, v8, vcc_lo :: v_dual_cndmask_b32 v9, -v9, v9, vcc_lo
	v_dual_cndmask_b32 v10, -v10, v10, vcc_lo :: v_dual_cndmask_b32 v11, -v11, v11, vcc_lo
	;; [unrolled: 1-line block ×3, first 2 shown]
	v_cndmask_b32_e64 v14, -v14, v14, vcc_lo
	v_dual_cndmask_b32 v6, v6, v22, s0 :: v_dual_lshlrev_b32 v15, 2, v15
	v_cmp_eq_u32_e32 vcc_lo, 0, v18
	v_and_b32_e32 v18, 16, v0
	s_wait_dscnt 0x6
	v_dual_add_f32 v16, v1, v16 :: v_dual_add_f32 v8, v8, v19
	s_wait_dscnt 0x4
	v_dual_add_f32 v9, v9, v20 :: v_dual_add_f32 v10, v10, v21
	;; [unrolled: 2-line block ×3, first 2 shown]
	s_wait_dscnt 0x1
	v_add_f32_e32 v13, v13, v25
	ds_bpermute_b32 v17, v15, v8
	s_wait_dscnt 0x1
	v_add_f32_e32 v7, v14, v7
	ds_bpermute_b32 v14, v15, v16
	ds_bpermute_b32 v19, v15, v9
	;; [unrolled: 1-line block ×7, first 2 shown]
	v_lshlrev_b32_e32 v6, 2, v6
	v_add_nc_u64_e32 v[0:1], s[6:7], v[4:5]
	v_cndmask_b32_e64 v4, -v16, v16, vcc_lo
	v_dual_cndmask_b32 v5, -v8, v8, vcc_lo :: v_dual_cndmask_b32 v8, -v9, v9, vcc_lo
	v_dual_cndmask_b32 v9, -v10, v10, vcc_lo :: v_dual_cndmask_b32 v10, -v11, v11, vcc_lo
	;; [unrolled: 1-line block ×3, first 2 shown]
	v_cndmask_b32_e64 v7, -v7, v7, vcc_lo
	v_cmp_eq_u32_e32 vcc_lo, 0, v18
	s_wait_dscnt 0x7
	v_add_f32_e32 v5, v5, v17
	v_add_nc_u64_e32 v[0:1], v[0:1], v[2:3]
	s_wait_dscnt 0x6
	v_add_f32_e32 v4, v4, v14
	s_wait_dscnt 0x4
	v_dual_add_f32 v8, v8, v19 :: v_dual_add_f32 v9, v9, v20
	s_wait_dscnt 0x2
	v_dual_add_f32 v10, v10, v21 :: v_dual_add_f32 v11, v11, v22
	s_wait_dscnt 0x1
	v_add_f32_e32 v12, v12, v23
	s_wait_dscnt 0x0
	v_dual_add_f32 v7, v7, v15 :: v_dual_cndmask_b32 v2, -v4, v4, vcc_lo
	ds_bpermute_b32 v13, v6, v4
	ds_bpermute_b32 v14, v6, v5
	;; [unrolled: 1-line block ×8, first 2 shown]
	v_dual_cndmask_b32 v3, -v5, v5, vcc_lo :: v_dual_cndmask_b32 v4, -v8, v8, vcc_lo
	v_dual_cndmask_b32 v5, -v9, v9, vcc_lo :: v_dual_cndmask_b32 v8, -v10, v10, vcc_lo
	;; [unrolled: 1-line block ×3, first 2 shown]
	s_wait_dscnt 0x7
	v_dual_cndmask_b32 v7, -v7, v7, vcc_lo :: v_dual_add_f32 v2, v2, v13
	s_wait_dscnt 0x5
	v_dual_add_f32 v3, v3, v14 :: v_dual_add_f32 v4, v4, v15
	s_wait_dscnt 0x3
	v_dual_add_f32 v5, v5, v16 :: v_dual_add_f32 v8, v8, v17
	;; [unrolled: 2-line block ×4, first 2 shown]
	v_dual_sub_f32 v2, v2, v3 :: v_dual_add_f32 v3, v4, v5
	v_sub_f32_e32 v4, v4, v5
	v_dual_add_f32 v5, v8, v9 :: v_dual_sub_f32 v8, v8, v9
	s_delay_alu instid0(VALU_DEP_4) | instskip(NEXT) | instid1(VALU_DEP_4)
	v_dual_add_f32 v9, v10, v6 :: v_dual_sub_f32 v6, v10, v6
	v_dual_sub_f32 v10, v7, v3 :: v_dual_add_f32 v3, v7, v3
	s_delay_alu instid0(VALU_DEP_2) | instskip(NEXT) | instid1(VALU_DEP_3)
	v_dual_add_f32 v7, v2, v4 :: v_dual_sub_f32 v11, v5, v9
	v_dual_add_f32 v5, v5, v9 :: v_dual_add_f32 v9, v8, v6
	v_dual_sub_f32 v2, v2, v4 :: v_dual_sub_f32 v4, v8, v6
	s_delay_alu instid0(VALU_DEP_2) | instskip(NEXT) | instid1(VALU_DEP_3)
	v_dual_sub_f32 v6, v10, v11 :: v_dual_add_f32 v8, v3, v5
	v_dual_add_f32 v10, v10, v11 :: v_dual_add_f32 v12, v7, v9
	v_sub_f32_e32 v3, v3, v5
	s_delay_alu instid0(VALU_DEP_4)
	v_dual_sub_f32 v5, v7, v9 :: v_dual_add_f32 v7, v2, v4
	v_sub_f32_e32 v2, v2, v4
	s_clause 0x7
	global_store_b32 v[0:1], v8, off
	global_store_b32 v[0:1], v12, off offset:128
	global_store_b32 v[0:1], v10, off offset:256
	;; [unrolled: 1-line block ×7, first 2 shown]
.LBB2_2:
	s_endpgm
	.section	.rodata,"a",@progbits
	.p2align	6, 0x0
	.amdhsa_kernel _Z9fwht_cudaILi256EEvPKfPflf
		.amdhsa_group_segment_fixed_size 0
		.amdhsa_private_segment_fixed_size 0
		.amdhsa_kernarg_size 288
		.amdhsa_user_sgpr_count 2
		.amdhsa_user_sgpr_dispatch_ptr 0
		.amdhsa_user_sgpr_queue_ptr 0
		.amdhsa_user_sgpr_kernarg_segment_ptr 1
		.amdhsa_user_sgpr_dispatch_id 0
		.amdhsa_user_sgpr_kernarg_preload_length 0
		.amdhsa_user_sgpr_kernarg_preload_offset 0
		.amdhsa_user_sgpr_private_segment_size 0
		.amdhsa_wavefront_size32 1
		.amdhsa_uses_dynamic_stack 0
		.amdhsa_enable_private_segment 0
		.amdhsa_system_sgpr_workgroup_id_x 1
		.amdhsa_system_sgpr_workgroup_id_y 0
		.amdhsa_system_sgpr_workgroup_id_z 0
		.amdhsa_system_sgpr_workgroup_info 0
		.amdhsa_system_vgpr_workitem_id 1
		.amdhsa_next_free_vgpr 30
		.amdhsa_next_free_sgpr 8
		.amdhsa_named_barrier_count 0
		.amdhsa_reserve_vcc 1
		.amdhsa_float_round_mode_32 0
		.amdhsa_float_round_mode_16_64 0
		.amdhsa_float_denorm_mode_32 3
		.amdhsa_float_denorm_mode_16_64 3
		.amdhsa_fp16_overflow 0
		.amdhsa_memory_ordered 1
		.amdhsa_forward_progress 1
		.amdhsa_inst_pref_size 13
		.amdhsa_round_robin_scheduling 0
		.amdhsa_exception_fp_ieee_invalid_op 0
		.amdhsa_exception_fp_denorm_src 0
		.amdhsa_exception_fp_ieee_div_zero 0
		.amdhsa_exception_fp_ieee_overflow 0
		.amdhsa_exception_fp_ieee_underflow 0
		.amdhsa_exception_fp_ieee_inexact 0
		.amdhsa_exception_int_div_zero 0
	.end_amdhsa_kernel
	.section	.text._Z9fwht_cudaILi256EEvPKfPflf,"axG",@progbits,_Z9fwht_cudaILi256EEvPKfPflf,comdat
.Lfunc_end2:
	.size	_Z9fwht_cudaILi256EEvPKfPflf, .Lfunc_end2-_Z9fwht_cudaILi256EEvPKfPflf
                                        ; -- End function
	.set _Z9fwht_cudaILi256EEvPKfPflf.num_vgpr, 30
	.set _Z9fwht_cudaILi256EEvPKfPflf.num_agpr, 0
	.set _Z9fwht_cudaILi256EEvPKfPflf.numbered_sgpr, 8
	.set _Z9fwht_cudaILi256EEvPKfPflf.num_named_barrier, 0
	.set _Z9fwht_cudaILi256EEvPKfPflf.private_seg_size, 0
	.set _Z9fwht_cudaILi256EEvPKfPflf.uses_vcc, 1
	.set _Z9fwht_cudaILi256EEvPKfPflf.uses_flat_scratch, 0
	.set _Z9fwht_cudaILi256EEvPKfPflf.has_dyn_sized_stack, 0
	.set _Z9fwht_cudaILi256EEvPKfPflf.has_recursion, 0
	.set _Z9fwht_cudaILi256EEvPKfPflf.has_indirect_call, 0
	.section	.AMDGPU.csdata,"",@progbits
; Kernel info:
; codeLenInByte = 1580
; TotalNumSgprs: 10
; NumVgprs: 30
; ScratchSize: 0
; MemoryBound: 0
; FloatMode: 240
; IeeeMode: 1
; LDSByteSize: 0 bytes/workgroup (compile time only)
; SGPRBlocks: 0
; VGPRBlocks: 1
; NumSGPRsForWavesPerEU: 10
; NumVGPRsForWavesPerEU: 30
; NamedBarCnt: 0
; Occupancy: 16
; WaveLimiterHint : 1
; COMPUTE_PGM_RSRC2:SCRATCH_EN: 0
; COMPUTE_PGM_RSRC2:USER_SGPR: 2
; COMPUTE_PGM_RSRC2:TRAP_HANDLER: 0
; COMPUTE_PGM_RSRC2:TGID_X_EN: 1
; COMPUTE_PGM_RSRC2:TGID_Y_EN: 0
; COMPUTE_PGM_RSRC2:TGID_Z_EN: 0
; COMPUTE_PGM_RSRC2:TIDIG_COMP_CNT: 1
	.section	.text._Z9fwht_cudaILi512EEvPKfPflf,"axG",@progbits,_Z9fwht_cudaILi512EEvPKfPflf,comdat
	.protected	_Z9fwht_cudaILi512EEvPKfPflf ; -- Begin function _Z9fwht_cudaILi512EEvPKfPflf
	.globl	_Z9fwht_cudaILi512EEvPKfPflf
	.p2align	8
	.type	_Z9fwht_cudaILi512EEvPKfPflf,@function
_Z9fwht_cudaILi512EEvPKfPflf:           ; @_Z9fwht_cudaILi512EEvPKfPflf
; %bb.0:
	s_clause 0x1
	s_load_u16 s4, s[0:1], 0x2e
	s_load_b64 s[2:3], s[0:1], 0x10
	s_bfe_u32 s5, ttmp6, 0x4000c
	s_and_b32 s6, ttmp6, 15
	s_add_co_i32 s5, s5, 1
	s_getreg_b32 s7, hwreg(HW_REG_IB_STS2, 6, 4)
	s_mul_i32 s5, ttmp9, s5
	v_bfe_u32 v2, v0, 10, 10
	v_mov_b32_e32 v3, 0
	s_add_co_i32 s6, s6, s5
	s_cmp_eq_u32 s7, 0
	s_cselect_b32 s5, ttmp9, s6
	s_wait_kmcnt 0x0
	v_mad_nc_u64_u32 v[4:5], s4, s5, v[2:3]
	s_delay_alu instid0(VALU_DEP_1)
	v_cmp_gt_i64_e32 vcc_lo, s[2:3], v[4:5]
	s_and_saveexec_b32 s2, vcc_lo
	s_cbranch_execz .LBB3_2
; %bb.1:
	s_load_b128 s[4:7], s[0:1], 0x0
	v_lshlrev_b64_e32 v[4:5], 11, v[4:5]
	v_and_b32_e32 v1, 0x3ff, v0
	s_wait_xcnt 0x0
	s_load_b32 s0, s[0:1], 0x18
	s_delay_alu instid0(VALU_DEP_1) | instskip(SKIP_1) | instid1(VALU_DEP_3)
	v_dual_lshlrev_b32 v2, 2, v1 :: v_dual_bitop2_b32 v23, 1, v0 bitop3:0x40
	s_wait_kmcnt 0x0
	v_add_nc_u64_e32 v[6:7], s[4:5], v[4:5]
	s_delay_alu instid0(VALU_DEP_1)
	v_add_nc_u64_e32 v[6:7], v[6:7], v[2:3]
	s_clause 0xf
	global_load_b32 v8, v[6:7], off
	global_load_b32 v9, v[6:7], off offset:128
	global_load_b32 v10, v[6:7], off offset:256
	;; [unrolled: 1-line block ×15, first 2 shown]
	s_wait_xcnt 0x0
	v_mbcnt_lo_u32_b32 v7, -1, 0
	v_and_b32_e32 v24, 2, v0
	s_delay_alu instid0(VALU_DEP_2)
	v_xor_b32_e32 v1, 2, v7
	v_and_b32_e32 v25, 4, v0
	v_xor_b32_e32 v28, 4, v7
	v_xor_b32_e32 v29, 8, v7
	v_and_b32_e32 v26, 8, v0
	v_xor_b32_e32 v30, 16, v7
	v_and_b32_e32 v27, 16, v0
	v_xor_b32_e32 v0, 1, v7
	s_delay_alu instid0(VALU_DEP_1)
	v_cmp_gt_i32_e32 vcc_lo, 32, v0
	v_cndmask_b32_e32 v31, v7, v0, vcc_lo
	v_cmp_gt_i32_e32 vcc_lo, 32, v1
	v_cndmask_b32_e32 v32, v7, v1, vcc_lo
	v_cmp_gt_i32_e32 vcc_lo, 32, v28
	v_add_nc_u64_e32 v[0:1], s[6:7], v[4:5]
	v_dual_cndmask_b32 v28, v7, v28 :: v_dual_lshlrev_b32 v5, 2, v31
	s_delay_alu instid0(VALU_DEP_2) | instskip(NEXT) | instid1(VALU_DEP_2)
	v_add_nc_u64_e32 v[0:1], v[0:1], v[2:3]
	v_lshlrev_b32_e32 v28, 2, v28
	v_cmp_gt_i32_e32 vcc_lo, 32, v29
	v_cndmask_b32_e32 v29, v7, v29, vcc_lo
	v_cmp_gt_i32_e32 vcc_lo, 32, v30
	s_delay_alu instid0(VALU_DEP_2) | instskip(SKIP_2) | instid1(VALU_DEP_3)
	v_dual_cndmask_b32 v4, v7, v30 :: v_dual_lshlrev_b32 v29, 2, v29
	v_cmp_eq_u32_e32 vcc_lo, 0, v23
	v_lshlrev_b32_e32 v7, 2, v32
	v_lshlrev_b32_e32 v4, 2, v4
	s_wait_loadcnt 0xe
	v_dual_mul_f32 v2, s0, v8 :: v_dual_mul_f32 v3, s0, v9
	s_wait_loadcnt 0xc
	v_dual_mul_f32 v8, s0, v10 :: v_dual_mul_f32 v9, s0, v11
	;; [unrolled: 2-line block ×7, first 2 shown]
	s_wait_loadcnt 0x1
	v_mul_f32_e32 v20, s0, v22
	s_wait_loadcnt 0x0
	v_mul_f32_e32 v6, s0, v6
	ds_bpermute_b32 v21, v5, v2
	ds_bpermute_b32 v22, v5, v3
	v_cndmask_b32_e64 v3, -v3, v3, vcc_lo
	ds_bpermute_b32 v23, v5, v8
	ds_bpermute_b32 v30, v5, v9
	;; [unrolled: 1-line block ×14, first 2 shown]
	v_dual_cndmask_b32 v2, -v2, v2, vcc_lo :: v_dual_cndmask_b32 v8, -v8, v8, vcc_lo
	v_dual_cndmask_b32 v9, -v9, v9, vcc_lo :: v_dual_cndmask_b32 v10, -v10, v10, vcc_lo
	;; [unrolled: 1-line block ×7, first 2 shown]
	s_wait_dscnt 0xd
	v_dual_cndmask_b32 v6, -v6, v6, vcc_lo :: v_dual_add_f32 v8, v8, v23
	v_dual_add_f32 v2, v2, v21 :: v_dual_add_f32 v3, v3, v22
	s_wait_dscnt 0xb
	v_dual_add_f32 v9, v9, v30 :: v_dual_add_f32 v10, v10, v31
	s_wait_dscnt 0x9
	v_dual_add_f32 v11, v11, v32 :: v_dual_add_f32 v12, v12, v33
	s_wait_dscnt 0x7
	v_dual_add_f32 v13, v13, v34 :: v_dual_add_f32 v14, v14, v35
	s_wait_dscnt 0x5
	v_dual_add_f32 v15, v15, v36 :: v_dual_add_f32 v16, v16, v37
	s_wait_dscnt 0x3
	v_dual_add_f32 v17, v17, v38 :: v_dual_add_f32 v18, v18, v39
	s_wait_dscnt 0x1
	v_dual_add_f32 v19, v19, v40 :: v_dual_add_f32 v20, v20, v41
	v_cmp_eq_u32_e32 vcc_lo, 0, v24
	s_wait_dscnt 0x0
	v_add_f32_e32 v5, v6, v5
	ds_bpermute_b32 v6, v7, v2
	ds_bpermute_b32 v21, v7, v3
	ds_bpermute_b32 v22, v7, v8
	v_cndmask_b32_e64 v3, -v3, v3, vcc_lo
	ds_bpermute_b32 v23, v7, v9
	ds_bpermute_b32 v24, v7, v10
	ds_bpermute_b32 v30, v7, v11
	ds_bpermute_b32 v31, v7, v12
	ds_bpermute_b32 v32, v7, v13
	ds_bpermute_b32 v33, v7, v14
	ds_bpermute_b32 v34, v7, v15
	ds_bpermute_b32 v35, v7, v16
	ds_bpermute_b32 v36, v7, v17
	ds_bpermute_b32 v37, v7, v18
	ds_bpermute_b32 v38, v7, v19
	ds_bpermute_b32 v39, v7, v20
	ds_bpermute_b32 v7, v7, v5
	v_dual_cndmask_b32 v2, -v2, v2, vcc_lo :: v_dual_cndmask_b32 v8, -v8, v8, vcc_lo
	v_dual_cndmask_b32 v9, -v9, v9, vcc_lo :: v_dual_cndmask_b32 v10, -v10, v10, vcc_lo
	v_dual_cndmask_b32 v11, -v11, v11, vcc_lo :: v_dual_cndmask_b32 v12, -v12, v12, vcc_lo
	v_dual_cndmask_b32 v13, -v13, v13, vcc_lo :: v_dual_cndmask_b32 v14, -v14, v14, vcc_lo
	v_dual_cndmask_b32 v15, -v15, v15, vcc_lo :: v_dual_cndmask_b32 v16, -v16, v16, vcc_lo
	v_dual_cndmask_b32 v17, -v17, v17, vcc_lo :: v_dual_cndmask_b32 v18, -v18, v18, vcc_lo
	v_dual_cndmask_b32 v19, -v19, v19, vcc_lo :: v_dual_cndmask_b32 v20, -v20, v20, vcc_lo
	s_wait_dscnt 0xf
	v_dual_cndmask_b32 v5, -v5, v5, vcc_lo :: v_dual_add_f32 v2, v2, v6
	s_wait_dscnt 0xd
	v_dual_add_f32 v3, v3, v21 :: v_dual_add_f32 v6, v8, v22
	s_wait_dscnt 0xb
	v_dual_add_f32 v8, v9, v23 :: v_dual_add_f32 v9, v10, v24
	s_wait_dscnt 0x9
	v_dual_add_f32 v10, v11, v30 :: v_dual_add_f32 v11, v12, v31
	s_wait_dscnt 0x7
	v_dual_add_f32 v12, v13, v32 :: v_dual_add_f32 v13, v14, v33
	s_wait_dscnt 0x5
	v_dual_add_f32 v14, v15, v34 :: v_dual_add_f32 v15, v16, v35
	s_wait_dscnt 0x3
	v_dual_add_f32 v16, v17, v36 :: v_dual_add_f32 v17, v18, v37
	s_wait_dscnt 0x1
	v_dual_add_f32 v18, v19, v38 :: v_dual_add_f32 v19, v20, v39
	v_cmp_eq_u32_e32 vcc_lo, 0, v25
	s_wait_dscnt 0x0
	v_add_f32_e32 v5, v5, v7
	ds_bpermute_b32 v7, v28, v2
	ds_bpermute_b32 v20, v28, v3
	ds_bpermute_b32 v21, v28, v6
	v_cndmask_b32_e64 v2, -v2, v2, vcc_lo
	ds_bpermute_b32 v22, v28, v8
	ds_bpermute_b32 v23, v28, v9
	ds_bpermute_b32 v24, v28, v10
	ds_bpermute_b32 v25, v28, v11
	ds_bpermute_b32 v30, v28, v12
	ds_bpermute_b32 v31, v28, v13
	ds_bpermute_b32 v32, v28, v14
	ds_bpermute_b32 v33, v28, v15
	ds_bpermute_b32 v34, v28, v16
	ds_bpermute_b32 v35, v28, v17
	ds_bpermute_b32 v36, v28, v18
	ds_bpermute_b32 v37, v28, v19
	ds_bpermute_b32 v28, v28, v5
	v_dual_cndmask_b32 v3, -v3, v3, vcc_lo :: v_dual_cndmask_b32 v6, -v6, v6, vcc_lo
	v_dual_cndmask_b32 v8, -v8, v8, vcc_lo :: v_dual_cndmask_b32 v9, -v9, v9, vcc_lo
	v_dual_cndmask_b32 v10, -v10, v10, vcc_lo :: v_dual_cndmask_b32 v11, -v11, v11, vcc_lo
	v_dual_cndmask_b32 v12, -v12, v12, vcc_lo :: v_dual_cndmask_b32 v13, -v13, v13, vcc_lo
	v_dual_cndmask_b32 v14, -v14, v14, vcc_lo :: v_dual_cndmask_b32 v15, -v15, v15, vcc_lo
	v_dual_cndmask_b32 v16, -v16, v16, vcc_lo :: v_dual_cndmask_b32 v17, -v17, v17, vcc_lo
	v_dual_cndmask_b32 v18, -v18, v18, vcc_lo :: v_dual_cndmask_b32 v19, -v19, v19, vcc_lo
	s_wait_dscnt 0xf
	v_dual_cndmask_b32 v5, -v5, v5, vcc_lo :: v_dual_add_f32 v2, v2, v7
	s_wait_dscnt 0xd
	;; [unrolled: 43-line block ×4, first 2 shown]
	v_dual_add_f32 v3, v3, v20 :: v_dual_add_f32 v6, v6, v21
	s_wait_dscnt 0xb
	v_dual_add_f32 v7, v7, v22 :: v_dual_add_f32 v8, v8, v23
	s_wait_dscnt 0x9
	;; [unrolled: 2-line block ×7, first 2 shown]
	v_dual_add_f32 v4, v5, v4 :: v_dual_add_f32 v5, v2, v3
	v_sub_f32_e32 v2, v2, v3
	v_dual_add_f32 v3, v6, v7 :: v_dual_sub_f32 v6, v6, v7
	v_dual_add_f32 v7, v8, v9 :: v_dual_sub_f32 v8, v8, v9
	;; [unrolled: 1-line block ×7, first 2 shown]
	v_dual_sub_f32 v18, v5, v3 :: v_dual_add_f32 v3, v5, v3
	v_dual_add_f32 v5, v2, v6 :: v_dual_sub_f32 v2, v2, v6
	v_dual_sub_f32 v6, v7, v9 :: v_dual_add_f32 v7, v7, v9
	v_dual_add_f32 v9, v8, v10 :: v_dual_sub_f32 v8, v8, v10
	;; [unrolled: 2-line block ×4, first 2 shown]
	v_dual_sub_f32 v16, v18, v6 :: v_dual_add_f32 v19, v3, v7
	v_dual_add_f32 v20, v5, v9 :: v_dual_add_f32 v6, v18, v6
	v_dual_sub_f32 v3, v3, v7 :: v_dual_sub_f32 v5, v5, v9
	v_dual_add_f32 v7, v2, v8 :: v_dual_sub_f32 v2, v2, v8
	v_dual_add_f32 v9, v11, v15 :: v_dual_sub_f32 v8, v10, v14
	v_dual_add_f32 v18, v13, v17 :: v_dual_add_f32 v10, v10, v14
	v_dual_sub_f32 v11, v11, v15 :: v_dual_sub_f32 v13, v13, v17
	v_dual_add_f32 v14, v12, v4 :: v_dual_sub_f32 v4, v12, v4
	s_delay_alu instid0(VALU_DEP_3) | instskip(NEXT) | instid1(VALU_DEP_3)
	v_dual_add_f32 v15, v19, v9 :: v_dual_add_f32 v17, v20, v18
	v_dual_add_f32 v23, v3, v11 :: v_dual_sub_f32 v12, v16, v8
	v_add_f32_e32 v21, v6, v10
	s_delay_alu instid0(VALU_DEP_4)
	v_dual_add_f32 v22, v7, v14 :: v_dual_add_f32 v24, v5, v13
	v_dual_add_f32 v8, v16, v8 :: v_dual_sub_f32 v9, v19, v9
	v_dual_sub_f32 v16, v20, v18 :: v_dual_sub_f32 v3, v3, v11
	v_dual_sub_f32 v6, v6, v10 :: v_dual_sub_f32 v5, v5, v13
	v_dual_sub_f32 v7, v7, v14 :: v_dual_add_f32 v10, v2, v4
	v_sub_f32_e32 v2, v2, v4
	s_clause 0xf
	global_store_b32 v[0:1], v15, off
	global_store_b32 v[0:1], v17, off offset:128
	global_store_b32 v[0:1], v21, off offset:256
	;; [unrolled: 1-line block ×15, first 2 shown]
.LBB3_2:
	s_endpgm
	.section	.rodata,"a",@progbits
	.p2align	6, 0x0
	.amdhsa_kernel _Z9fwht_cudaILi512EEvPKfPflf
		.amdhsa_group_segment_fixed_size 0
		.amdhsa_private_segment_fixed_size 0
		.amdhsa_kernarg_size 288
		.amdhsa_user_sgpr_count 2
		.amdhsa_user_sgpr_dispatch_ptr 0
		.amdhsa_user_sgpr_queue_ptr 0
		.amdhsa_user_sgpr_kernarg_segment_ptr 1
		.amdhsa_user_sgpr_dispatch_id 0
		.amdhsa_user_sgpr_kernarg_preload_length 0
		.amdhsa_user_sgpr_kernarg_preload_offset 0
		.amdhsa_user_sgpr_private_segment_size 0
		.amdhsa_wavefront_size32 1
		.amdhsa_uses_dynamic_stack 0
		.amdhsa_enable_private_segment 0
		.amdhsa_system_sgpr_workgroup_id_x 1
		.amdhsa_system_sgpr_workgroup_id_y 0
		.amdhsa_system_sgpr_workgroup_id_z 0
		.amdhsa_system_sgpr_workgroup_info 0
		.amdhsa_system_vgpr_workitem_id 1
		.amdhsa_next_free_vgpr 42
		.amdhsa_next_free_sgpr 8
		.amdhsa_named_barrier_count 0
		.amdhsa_reserve_vcc 1
		.amdhsa_float_round_mode_32 0
		.amdhsa_float_round_mode_16_64 0
		.amdhsa_float_denorm_mode_32 3
		.amdhsa_float_denorm_mode_16_64 3
		.amdhsa_fp16_overflow 0
		.amdhsa_memory_ordered 1
		.amdhsa_forward_progress 1
		.amdhsa_inst_pref_size 22
		.amdhsa_round_robin_scheduling 0
		.amdhsa_exception_fp_ieee_invalid_op 0
		.amdhsa_exception_fp_denorm_src 0
		.amdhsa_exception_fp_ieee_div_zero 0
		.amdhsa_exception_fp_ieee_overflow 0
		.amdhsa_exception_fp_ieee_underflow 0
		.amdhsa_exception_fp_ieee_inexact 0
		.amdhsa_exception_int_div_zero 0
	.end_amdhsa_kernel
	.section	.text._Z9fwht_cudaILi512EEvPKfPflf,"axG",@progbits,_Z9fwht_cudaILi512EEvPKfPflf,comdat
.Lfunc_end3:
	.size	_Z9fwht_cudaILi512EEvPKfPflf, .Lfunc_end3-_Z9fwht_cudaILi512EEvPKfPflf
                                        ; -- End function
	.set _Z9fwht_cudaILi512EEvPKfPflf.num_vgpr, 42
	.set _Z9fwht_cudaILi512EEvPKfPflf.num_agpr, 0
	.set _Z9fwht_cudaILi512EEvPKfPflf.numbered_sgpr, 8
	.set _Z9fwht_cudaILi512EEvPKfPflf.num_named_barrier, 0
	.set _Z9fwht_cudaILi512EEvPKfPflf.private_seg_size, 0
	.set _Z9fwht_cudaILi512EEvPKfPflf.uses_vcc, 1
	.set _Z9fwht_cudaILi512EEvPKfPflf.uses_flat_scratch, 0
	.set _Z9fwht_cudaILi512EEvPKfPflf.has_dyn_sized_stack, 0
	.set _Z9fwht_cudaILi512EEvPKfPflf.has_recursion, 0
	.set _Z9fwht_cudaILi512EEvPKfPflf.has_indirect_call, 0
	.section	.AMDGPU.csdata,"",@progbits
; Kernel info:
; codeLenInByte = 2736
; TotalNumSgprs: 10
; NumVgprs: 42
; ScratchSize: 0
; MemoryBound: 0
; FloatMode: 240
; IeeeMode: 1
; LDSByteSize: 0 bytes/workgroup (compile time only)
; SGPRBlocks: 0
; VGPRBlocks: 2
; NumSGPRsForWavesPerEU: 10
; NumVGPRsForWavesPerEU: 42
; NamedBarCnt: 0
; Occupancy: 16
; WaveLimiterHint : 1
; COMPUTE_PGM_RSRC2:SCRATCH_EN: 0
; COMPUTE_PGM_RSRC2:USER_SGPR: 2
; COMPUTE_PGM_RSRC2:TRAP_HANDLER: 0
; COMPUTE_PGM_RSRC2:TGID_X_EN: 1
; COMPUTE_PGM_RSRC2:TGID_Y_EN: 0
; COMPUTE_PGM_RSRC2:TGID_Z_EN: 0
; COMPUTE_PGM_RSRC2:TIDIG_COMP_CNT: 1
	.section	.AMDGPU.gpr_maximums,"",@progbits
	.set amdgpu.max_num_vgpr, 0
	.set amdgpu.max_num_agpr, 0
	.set amdgpu.max_num_sgpr, 0
	.section	.AMDGPU.csdata,"",@progbits
	.type	__hip_cuid_4e11f4ff098132bb,@object ; @__hip_cuid_4e11f4ff098132bb
	.section	.bss,"aw",@nobits
	.globl	__hip_cuid_4e11f4ff098132bb
__hip_cuid_4e11f4ff098132bb:
	.byte	0                               ; 0x0
	.size	__hip_cuid_4e11f4ff098132bb, 1

	.ident	"AMD clang version 22.0.0git (https://github.com/RadeonOpenCompute/llvm-project roc-7.2.4 26084 f58b06dce1f9c15707c5f808fd002e18c2accf7e)"
	.section	".note.GNU-stack","",@progbits
	.addrsig
	.addrsig_sym __hip_cuid_4e11f4ff098132bb
	.amdgpu_metadata
---
amdhsa.kernels:
  - .args:
      - .address_space:  global
        .offset:         0
        .size:           8
        .value_kind:     global_buffer
      - .address_space:  global
        .offset:         8
        .size:           8
        .value_kind:     global_buffer
      - .offset:         16
        .size:           8
        .value_kind:     by_value
      - .offset:         24
        .size:           4
        .value_kind:     by_value
      - .offset:         32
        .size:           4
        .value_kind:     hidden_block_count_x
      - .offset:         36
        .size:           4
        .value_kind:     hidden_block_count_y
      - .offset:         40
        .size:           4
        .value_kind:     hidden_block_count_z
      - .offset:         44
        .size:           2
        .value_kind:     hidden_group_size_x
      - .offset:         46
        .size:           2
        .value_kind:     hidden_group_size_y
      - .offset:         48
        .size:           2
        .value_kind:     hidden_group_size_z
      - .offset:         50
        .size:           2
        .value_kind:     hidden_remainder_x
      - .offset:         52
        .size:           2
        .value_kind:     hidden_remainder_y
      - .offset:         54
        .size:           2
        .value_kind:     hidden_remainder_z
      - .offset:         72
        .size:           8
        .value_kind:     hidden_global_offset_x
      - .offset:         80
        .size:           8
        .value_kind:     hidden_global_offset_y
      - .offset:         88
        .size:           8
        .value_kind:     hidden_global_offset_z
      - .offset:         96
        .size:           2
        .value_kind:     hidden_grid_dims
    .group_segment_fixed_size: 0
    .kernarg_segment_align: 8
    .kernarg_segment_size: 288
    .language:       OpenCL C
    .language_version:
      - 2
      - 0
    .max_flat_workgroup_size: 128
    .name:           _Z9fwht_cudaILi64EEvPKfPflf
    .private_segment_fixed_size: 0
    .sgpr_count:     10
    .sgpr_spill_count: 0
    .symbol:         _Z9fwht_cudaILi64EEvPKfPflf.kd
    .uniform_work_group_size: 1
    .uses_dynamic_stack: false
    .vgpr_count:     12
    .vgpr_spill_count: 0
    .wavefront_size: 32
  - .args:
      - .address_space:  global
        .offset:         0
        .size:           8
        .value_kind:     global_buffer
      - .address_space:  global
        .offset:         8
        .size:           8
        .value_kind:     global_buffer
      - .offset:         16
        .size:           8
        .value_kind:     by_value
      - .offset:         24
        .size:           4
        .value_kind:     by_value
      - .offset:         32
        .size:           4
        .value_kind:     hidden_block_count_x
      - .offset:         36
        .size:           4
        .value_kind:     hidden_block_count_y
      - .offset:         40
        .size:           4
        .value_kind:     hidden_block_count_z
      - .offset:         44
        .size:           2
        .value_kind:     hidden_group_size_x
      - .offset:         46
        .size:           2
        .value_kind:     hidden_group_size_y
      - .offset:         48
        .size:           2
        .value_kind:     hidden_group_size_z
      - .offset:         50
        .size:           2
        .value_kind:     hidden_remainder_x
      - .offset:         52
        .size:           2
        .value_kind:     hidden_remainder_y
      - .offset:         54
        .size:           2
        .value_kind:     hidden_remainder_z
      - .offset:         72
        .size:           8
        .value_kind:     hidden_global_offset_x
      - .offset:         80
        .size:           8
        .value_kind:     hidden_global_offset_y
      - .offset:         88
        .size:           8
        .value_kind:     hidden_global_offset_z
      - .offset:         96
        .size:           2
        .value_kind:     hidden_grid_dims
    .group_segment_fixed_size: 0
    .kernarg_segment_align: 8
    .kernarg_segment_size: 288
    .language:       OpenCL C
    .language_version:
      - 2
      - 0
    .max_flat_workgroup_size: 128
    .name:           _Z9fwht_cudaILi128EEvPKfPflf
    .private_segment_fixed_size: 0
    .sgpr_count:     10
    .sgpr_spill_count: 0
    .symbol:         _Z9fwht_cudaILi128EEvPKfPflf.kd
    .uniform_work_group_size: 1
    .uses_dynamic_stack: false
    .vgpr_count:     16
    .vgpr_spill_count: 0
    .wavefront_size: 32
  - .args:
      - .address_space:  global
        .offset:         0
        .size:           8
        .value_kind:     global_buffer
      - .address_space:  global
        .offset:         8
        .size:           8
        .value_kind:     global_buffer
      - .offset:         16
        .size:           8
        .value_kind:     by_value
      - .offset:         24
        .size:           4
        .value_kind:     by_value
      - .offset:         32
        .size:           4
        .value_kind:     hidden_block_count_x
      - .offset:         36
        .size:           4
        .value_kind:     hidden_block_count_y
      - .offset:         40
        .size:           4
        .value_kind:     hidden_block_count_z
      - .offset:         44
        .size:           2
        .value_kind:     hidden_group_size_x
      - .offset:         46
        .size:           2
        .value_kind:     hidden_group_size_y
      - .offset:         48
        .size:           2
        .value_kind:     hidden_group_size_z
      - .offset:         50
        .size:           2
        .value_kind:     hidden_remainder_x
      - .offset:         52
        .size:           2
        .value_kind:     hidden_remainder_y
      - .offset:         54
        .size:           2
        .value_kind:     hidden_remainder_z
      - .offset:         72
        .size:           8
        .value_kind:     hidden_global_offset_x
      - .offset:         80
        .size:           8
        .value_kind:     hidden_global_offset_y
      - .offset:         88
        .size:           8
        .value_kind:     hidden_global_offset_z
      - .offset:         96
        .size:           2
        .value_kind:     hidden_grid_dims
    .group_segment_fixed_size: 0
    .kernarg_segment_align: 8
    .kernarg_segment_size: 288
    .language:       OpenCL C
    .language_version:
      - 2
      - 0
    .max_flat_workgroup_size: 128
    .name:           _Z9fwht_cudaILi256EEvPKfPflf
    .private_segment_fixed_size: 0
    .sgpr_count:     10
    .sgpr_spill_count: 0
    .symbol:         _Z9fwht_cudaILi256EEvPKfPflf.kd
    .uniform_work_group_size: 1
    .uses_dynamic_stack: false
    .vgpr_count:     30
    .vgpr_spill_count: 0
    .wavefront_size: 32
  - .args:
      - .address_space:  global
        .offset:         0
        .size:           8
        .value_kind:     global_buffer
      - .address_space:  global
        .offset:         8
        .size:           8
        .value_kind:     global_buffer
      - .offset:         16
        .size:           8
        .value_kind:     by_value
      - .offset:         24
        .size:           4
        .value_kind:     by_value
      - .offset:         32
        .size:           4
        .value_kind:     hidden_block_count_x
      - .offset:         36
        .size:           4
        .value_kind:     hidden_block_count_y
      - .offset:         40
        .size:           4
        .value_kind:     hidden_block_count_z
      - .offset:         44
        .size:           2
        .value_kind:     hidden_group_size_x
      - .offset:         46
        .size:           2
        .value_kind:     hidden_group_size_y
      - .offset:         48
        .size:           2
        .value_kind:     hidden_group_size_z
      - .offset:         50
        .size:           2
        .value_kind:     hidden_remainder_x
      - .offset:         52
        .size:           2
        .value_kind:     hidden_remainder_y
      - .offset:         54
        .size:           2
        .value_kind:     hidden_remainder_z
      - .offset:         72
        .size:           8
        .value_kind:     hidden_global_offset_x
      - .offset:         80
        .size:           8
        .value_kind:     hidden_global_offset_y
      - .offset:         88
        .size:           8
        .value_kind:     hidden_global_offset_z
      - .offset:         96
        .size:           2
        .value_kind:     hidden_grid_dims
    .group_segment_fixed_size: 0
    .kernarg_segment_align: 8
    .kernarg_segment_size: 288
    .language:       OpenCL C
    .language_version:
      - 2
      - 0
    .max_flat_workgroup_size: 128
    .name:           _Z9fwht_cudaILi512EEvPKfPflf
    .private_segment_fixed_size: 0
    .sgpr_count:     10
    .sgpr_spill_count: 0
    .symbol:         _Z9fwht_cudaILi512EEvPKfPflf.kd
    .uniform_work_group_size: 1
    .uses_dynamic_stack: false
    .vgpr_count:     42
    .vgpr_spill_count: 0
    .wavefront_size: 32
amdhsa.target:   amdgcn-amd-amdhsa--gfx1250
amdhsa.version:
  - 1
  - 2
...

	.end_amdgpu_metadata
